;; amdgpu-corpus repo=zjin-lcf/HeCBench kind=compiled arch=gfx1250 opt=O3
	.amdgcn_target "amdgcn-amd-amdhsa--gfx1250"
	.amdhsa_code_object_version 6
	.text
	.protected	_Z7rombergddPd          ; -- Begin function _Z7rombergddPd
	.globl	_Z7rombergddPd
	.p2align	8
	.type	_Z7rombergddPd,@function
_Z7rombergddPd:                         ; @_Z7rombergddPd
; %bb.0:
	s_clause 0x1
	s_load_b128 s[4:7], s[0:1], 0x0
	s_load_b96 s[8:10], s[0:1], 0x10
	s_bfe_u32 s2, ttmp6, 0x4000c
	s_and_b32 s3, ttmp6, 15
	s_add_co_i32 s2, s2, 1
	s_wait_xcnt 0x0
	s_load_b32 s1, s[0:1], 0x24
	s_mul_i32 s2, ttmp9, s2
	s_wait_xcnt 0x0
	v_cmp_eq_u32_e64 s0, 0, v0
	s_add_co_i32 s3, s3, s2
	v_mov_b32_e32 v1, v0
	s_wait_kmcnt 0x0
	v_add_f64_e64 v[2:3], s[6:7], -s[4:5]
	v_cvt_f64_u32_e32 v[4:5], s10
	s_getreg_b32 s6, hwreg(HW_REG_IB_STS2, 6, 4)
	s_delay_alu instid0(SALU_CYCLE_1) | instskip(SKIP_3) | instid1(VALU_DEP_1)
	s_cmp_eq_u32 s6, 0
	s_cselect_b32 s12, ttmp9, s3
	s_and_b32 s13, s1, 0xffff
	s_add_co_i32 s2, s12, 1
	v_div_scale_f64 v[6:7], null, v[4:5], v[4:5], v[2:3]
	v_div_scale_f64 v[12:13], vcc_lo, v[2:3], v[4:5], v[2:3]
	s_delay_alu instid0(VALU_DEP_2) | instskip(SKIP_1) | instid1(TRANS32_DEP_1)
	v_rcp_f64_e32 v[8:9], v[6:7]
	v_nop
	v_fma_f64 v[10:11], -v[6:7], v[8:9], 1.0
	s_delay_alu instid0(VALU_DEP_1) | instskip(NEXT) | instid1(VALU_DEP_1)
	v_fmac_f64_e32 v[8:9], v[8:9], v[10:11]
	v_fma_f64 v[10:11], -v[6:7], v[8:9], 1.0
	s_delay_alu instid0(VALU_DEP_1) | instskip(NEXT) | instid1(VALU_DEP_1)
	v_fmac_f64_e32 v[8:9], v[8:9], v[10:11]
	v_mul_f64_e32 v[10:11], v[12:13], v[8:9]
	s_delay_alu instid0(VALU_DEP_1) | instskip(NEXT) | instid1(VALU_DEP_1)
	v_fma_f64 v[6:7], -v[6:7], v[10:11], v[12:13]
	v_div_fmas_f64 v[6:7], v[6:7], v[8:9], v[10:11]
	v_cvt_f64_u32_e32 v[8:9], s2
	v_mov_b64_e32 v[10:11], 0
	s_delay_alu instid0(VALU_DEP_3) | instskip(SKIP_1) | instid1(VALU_DEP_2)
	v_div_fixup_f64 v[2:3], v[6:7], v[4:5], v[2:3]
	v_cvt_f64_u32_e32 v[6:7], s12
	v_fma_f64 v[4:5], v[2:3], v[8:9], s[4:5]
	s_delay_alu instid0(VALU_DEP_2) | instskip(SKIP_1) | instid1(SALU_CYCLE_1)
	v_fma_f64 v[2:3], v[2:3], v[6:7], s[4:5]
	s_mov_b32 s4, 0
	s_mov_b32 s6, s4
	;; [unrolled: 1-line block ×4, first 2 shown]
	v_mov_b64_e32 v[8:9], s[6:7]
	v_mov_b64_e32 v[6:7], s[4:5]
	s_clause 0x8
	scratch_store_b128 off, v[6:9], off
	scratch_store_b128 off, v[6:9], off offset:16
	scratch_store_b128 off, v[6:9], off offset:32
	;; [unrolled: 1-line block ×7, first 2 shown]
	scratch_store_b64 off, v[10:11], off offset:128
	s_wait_xcnt 0x0
	s_and_saveexec_b32 s7, s0
	s_cbranch_execz .LBB0_10
; %bb.1:
	v_cmp_ngt_f64_e64 s1, 0x41d00000, |v[2:3]|
	s_and_b32 vcc_lo, exec_lo, s1
	s_cbranch_vccz .LBB0_3
; %bb.2:
	v_ldexp_f64 v[6:7], |v[2:3]|, 0xffffff80
	v_cmp_le_f64_e64 vcc_lo, 0x7b000000, |v[2:3]|
	v_trig_preop_f64 v[8:9], |v[2:3]|, 0
	v_and_b32_e32 v1, 0x7fffffff, v3
	v_trig_preop_f64 v[10:11], |v[2:3]|, 1
	v_trig_preop_f64 v[20:21], |v[2:3]|, 2
	s_mov_b32 s2, 0
	s_mov_b64 s[4:5], 0x3ff921fb54442d18
	v_dual_cndmask_b32 v7, v1, v7 :: v_dual_cndmask_b32 v6, v2, v6
	s_delay_alu instid0(VALU_DEP_1) | instskip(NEXT) | instid1(VALU_DEP_4)
	v_mul_f64_e32 v[12:13], v[8:9], v[6:7]
	v_mul_f64_e32 v[14:15], v[10:11], v[6:7]
	s_delay_alu instid0(VALU_DEP_4) | instskip(NEXT) | instid1(VALU_DEP_3)
	v_mul_f64_e32 v[26:27], v[20:21], v[6:7]
	v_fma_f64 v[8:9], v[8:9], v[6:7], -v[12:13]
	s_delay_alu instid0(VALU_DEP_3) | instskip(NEXT) | instid1(VALU_DEP_3)
	v_fma_f64 v[10:11], v[10:11], v[6:7], -v[14:15]
	v_fma_f64 v[6:7], v[20:21], v[6:7], -v[26:27]
	s_delay_alu instid0(VALU_DEP_3) | instskip(NEXT) | instid1(VALU_DEP_1)
	v_add_f64_e32 v[16:17], v[14:15], v[8:9]
	v_add_f64_e64 v[18:19], v[16:17], -v[14:15]
	v_add_f64_e32 v[24:25], v[12:13], v[16:17]
	s_delay_alu instid0(VALU_DEP_2) | instskip(SKIP_1) | instid1(VALU_DEP_3)
	v_add_f64_e64 v[22:23], v[16:17], -v[18:19]
	v_add_f64_e64 v[8:9], v[8:9], -v[18:19]
	v_ldexp_f64 v[18:19], v[24:25], -2
	s_delay_alu instid0(VALU_DEP_3) | instskip(SKIP_1) | instid1(VALU_DEP_3)
	v_add_f64_e64 v[14:15], v[14:15], -v[22:23]
	v_add_f64_e32 v[22:23], v[26:27], v[10:11]
	v_cmp_neq_f64_e64 vcc_lo, 0x7ff00000, |v[18:19]|
	s_delay_alu instid0(VALU_DEP_3) | instskip(SKIP_1) | instid1(VALU_DEP_1)
	v_add_f64_e32 v[8:9], v[8:9], v[14:15]
	v_fract_f64_e32 v[14:15], v[18:19]
	v_ldexp_f64 v[14:15], v[14:15], 2
	s_delay_alu instid0(VALU_DEP_1) | instskip(NEXT) | instid1(VALU_DEP_1)
	v_dual_add_f64 v[12:13], v[24:25], -v[12:13] :: v_dual_cndmask_b32 v14, 0, v14, vcc_lo
	v_dual_add_f64 v[12:13], v[16:17], -v[12:13] :: v_dual_cndmask_b32 v15, 0, v15, vcc_lo
	v_add_f64_e32 v[16:17], v[22:23], v[8:9]
	s_delay_alu instid0(VALU_DEP_1) | instskip(SKIP_1) | instid1(VALU_DEP_2)
	v_add_f64_e32 v[18:19], v[12:13], v[16:17]
	v_add_f64_e64 v[28:29], v[16:17], -v[22:23]
	v_add_f64_e32 v[24:25], v[18:19], v[14:15]
	s_delay_alu instid0(VALU_DEP_2) | instskip(SKIP_2) | instid1(VALU_DEP_4)
	v_add_f64_e64 v[34:35], v[16:17], -v[28:29]
	v_add_f64_e64 v[8:9], v[8:9], -v[28:29]
	;; [unrolled: 1-line block ×3, first 2 shown]
	v_cmp_gt_f64_e32 vcc_lo, 0, v[24:25]
	v_add_f64_e64 v[24:25], v[22:23], -v[26:27]
	s_delay_alu instid0(VALU_DEP_3) | instskip(SKIP_2) | instid1(VALU_DEP_2)
	v_add_f64_e64 v[12:13], v[16:17], -v[12:13]
	s_and_b32 s1, vcc_lo, exec_lo
	s_cselect_b32 s3, 0x40100000, 0
	v_add_f64_e64 v[32:33], v[22:23], -v[24:25]
	v_add_f64_e32 v[14:15], s[2:3], v[14:15]
	v_add_f64_e64 v[10:11], v[10:11], -v[24:25]
	v_add_f64_e64 v[22:23], v[22:23], -v[34:35]
	s_delay_alu instid0(VALU_DEP_4) | instskip(NEXT) | instid1(VALU_DEP_4)
	v_add_f64_e64 v[24:25], v[26:27], -v[32:33]
	v_add_f64_e32 v[30:31], v[18:19], v[14:15]
	s_delay_alu instid0(VALU_DEP_3) | instskip(NEXT) | instid1(VALU_DEP_3)
	v_add_f64_e32 v[8:9], v[8:9], v[22:23]
	v_add_f64_e32 v[10:11], v[10:11], v[24:25]
	s_delay_alu instid0(VALU_DEP_3) | instskip(NEXT) | instid1(VALU_DEP_2)
	v_cvt_i32_f64_e32 v1, v[30:31]
	v_add_f64_e32 v[8:9], v[10:11], v[8:9]
	s_delay_alu instid0(VALU_DEP_2) | instskip(NEXT) | instid1(VALU_DEP_2)
	v_cvt_f64_i32_e32 v[28:29], v1
	v_add_f64_e32 v[6:7], v[6:7], v[8:9]
	s_delay_alu instid0(VALU_DEP_2) | instskip(NEXT) | instid1(VALU_DEP_2)
	v_add_f64_e64 v[14:15], v[14:15], -v[28:29]
	v_add_f64_e32 v[6:7], v[12:13], v[6:7]
	s_delay_alu instid0(VALU_DEP_2) | instskip(NEXT) | instid1(VALU_DEP_1)
	v_add_f64_e32 v[10:11], v[18:19], v[14:15]
	v_add_f64_e64 v[8:9], v[10:11], -v[14:15]
	v_cmp_le_f64_e32 vcc_lo, 0.5, v[10:11]
	s_delay_alu instid0(VALU_DEP_2) | instskip(SKIP_3) | instid1(VALU_DEP_2)
	v_add_f64_e64 v[8:9], v[18:19], -v[8:9]
	s_and_b32 s1, vcc_lo, exec_lo
	s_cselect_b32 s3, 0x3ff00000, 0
	v_add_co_ci_u32_e64 v1, null, 0, v1, vcc_lo
	v_add_f64_e32 v[6:7], v[6:7], v[8:9]
	v_add_f64_e64 v[8:9], v[10:11], -s[2:3]
	s_delay_alu instid0(VALU_DEP_1) | instskip(NEXT) | instid1(VALU_DEP_1)
	v_add_f64_e32 v[10:11], v[8:9], v[6:7]
	v_mul_f64_e32 v[12:13], 0x3ff921fb54442d18, v[10:11]
	v_add_f64_e64 v[8:9], v[10:11], -v[8:9]
	s_delay_alu instid0(VALU_DEP_2) | instskip(NEXT) | instid1(VALU_DEP_2)
	v_fma_f64 v[14:15], v[10:11], s[4:5], -v[12:13]
	v_add_f64_e64 v[6:7], v[6:7], -v[8:9]
	s_delay_alu instid0(VALU_DEP_2) | instskip(NEXT) | instid1(VALU_DEP_1)
	v_fmamk_f64 v[8:9], v[10:11], 0x3c91a62633145c07, v[14:15]
	v_fmac_f64_e32 v[8:9], 0x3ff921fb54442d18, v[6:7]
	s_delay_alu instid0(VALU_DEP_1) | instskip(NEXT) | instid1(VALU_DEP_1)
	v_add_f64_e32 v[6:7], v[12:13], v[8:9]
	v_add_f64_e64 v[10:11], v[6:7], -v[12:13]
	s_delay_alu instid0(VALU_DEP_1)
	v_add_f64_e64 v[8:9], v[8:9], -v[10:11]
	s_cbranch_execz .LBB0_4
	s_branch .LBB0_5
.LBB0_3:
                                        ; implicit-def: $vgpr1
                                        ; implicit-def: $vgpr6_vgpr7
                                        ; implicit-def: $vgpr8_vgpr9
.LBB0_4:
	s_mov_b64 s[2:3], 0x3fe45f306dc9c883
	s_delay_alu instid0(SALU_CYCLE_1) | instskip(SKIP_1) | instid1(VALU_DEP_1)
	v_mul_f64_e64 v[6:7], |v[2:3]|, s[2:3]
	s_mov_b64 s[2:3], 0xbff921fb54442d18
	v_rndne_f64_e32 v[10:11], v[6:7]
	s_delay_alu instid0(VALU_DEP_1) | instskip(SKIP_2) | instid1(VALU_DEP_3)
	v_fma_f64 v[6:7], v[10:11], s[2:3], |v[2:3]|
	v_mul_f64_e32 v[8:9], 0xbc91a62633145c00, v[10:11]
	v_cvt_i32_f64_e32 v1, v[10:11]
	v_fmamk_f64 v[16:17], v[10:11], 0xbc91a62633145c00, v[6:7]
	s_delay_alu instid0(VALU_DEP_3) | instskip(NEXT) | instid1(VALU_DEP_1)
	v_add_f64_e32 v[12:13], v[6:7], v[8:9]
	v_add_f64_e64 v[14:15], v[6:7], -v[12:13]
	s_delay_alu instid0(VALU_DEP_3) | instskip(NEXT) | instid1(VALU_DEP_2)
	v_add_f64_e64 v[6:7], v[12:13], -v[16:17]
	v_add_f64_e32 v[12:13], v[14:15], v[8:9]
	v_fmamk_f64 v[8:9], v[10:11], 0x3c91a62633145c00, v[8:9]
	s_delay_alu instid0(VALU_DEP_2) | instskip(NEXT) | instid1(VALU_DEP_1)
	v_add_f64_e32 v[6:7], v[6:7], v[12:13]
	v_add_f64_e64 v[6:7], v[6:7], -v[8:9]
	s_delay_alu instid0(VALU_DEP_1) | instskip(NEXT) | instid1(VALU_DEP_1)
	v_fmamk_f64 v[8:9], v[10:11], 0xb97b839a252049c0, v[6:7]
	v_add_f64_e32 v[6:7], v[16:17], v[8:9]
	s_delay_alu instid0(VALU_DEP_1) | instskip(NEXT) | instid1(VALU_DEP_1)
	v_add_f64_e64 v[12:13], v[6:7], -v[16:17]
	v_add_f64_e64 v[8:9], v[8:9], -v[12:13]
.LBB0_5:
	v_cmp_ngt_f64_e64 s1, 0x41d00000, |v[4:5]|
	s_and_b32 vcc_lo, exec_lo, s1
	s_cbranch_vccz .LBB0_7
; %bb.6:
	v_ldexp_f64 v[10:11], |v[4:5]|, 0xffffff80
	v_cmp_le_f64_e64 vcc_lo, 0x7b000000, |v[4:5]|
	v_trig_preop_f64 v[12:13], |v[4:5]|, 0
	v_and_b32_e32 v14, 0x7fffffff, v5
	v_trig_preop_f64 v[24:25], |v[4:5]|, 2
	s_mov_b32 s2, 0
	s_mov_b64 s[4:5], 0x3ff921fb54442d18
	s_delay_alu instid0(VALU_DEP_2) | instskip(SKIP_1) | instid1(VALU_DEP_2)
	v_dual_cndmask_b32 v11, v14, v11 :: v_dual_cndmask_b32 v10, v4, v10
	v_trig_preop_f64 v[14:15], |v[4:5]|, 1
	v_mul_f64_e32 v[16:17], v[12:13], v[10:11]
	s_delay_alu instid0(VALU_DEP_4) | instskip(NEXT) | instid1(VALU_DEP_3)
	v_mul_f64_e32 v[30:31], v[24:25], v[10:11]
	v_mul_f64_e32 v[18:19], v[14:15], v[10:11]
	s_delay_alu instid0(VALU_DEP_3) | instskip(NEXT) | instid1(VALU_DEP_2)
	v_fma_f64 v[12:13], v[12:13], v[10:11], -v[16:17]
	v_fma_f64 v[14:15], v[14:15], v[10:11], -v[18:19]
	s_delay_alu instid0(VALU_DEP_4) | instskip(NEXT) | instid1(VALU_DEP_3)
	v_fma_f64 v[10:11], v[24:25], v[10:11], -v[30:31]
	v_add_f64_e32 v[20:21], v[18:19], v[12:13]
	s_delay_alu instid0(VALU_DEP_1) | instskip(SKIP_1) | instid1(VALU_DEP_2)
	v_add_f64_e64 v[22:23], v[20:21], -v[18:19]
	v_add_f64_e32 v[28:29], v[16:17], v[20:21]
	v_add_f64_e64 v[26:27], v[20:21], -v[22:23]
	v_add_f64_e64 v[12:13], v[12:13], -v[22:23]
	s_delay_alu instid0(VALU_DEP_3) | instskip(NEXT) | instid1(VALU_DEP_3)
	v_ldexp_f64 v[22:23], v[28:29], -2
	v_add_f64_e64 v[18:19], v[18:19], -v[26:27]
	v_add_f64_e32 v[26:27], v[30:31], v[14:15]
	s_delay_alu instid0(VALU_DEP_3) | instskip(NEXT) | instid1(VALU_DEP_3)
	v_cmp_neq_f64_e64 vcc_lo, 0x7ff00000, |v[22:23]|
	v_add_f64_e32 v[12:13], v[12:13], v[18:19]
	v_fract_f64_e32 v[18:19], v[22:23]
	s_delay_alu instid0(VALU_DEP_1) | instskip(NEXT) | instid1(VALU_DEP_1)
	v_ldexp_f64 v[18:19], v[18:19], 2
	v_dual_add_f64 v[16:17], v[28:29], -v[16:17] :: v_dual_cndmask_b32 v18, 0, v18, vcc_lo
	s_delay_alu instid0(VALU_DEP_1) | instskip(SKIP_1) | instid1(VALU_DEP_1)
	v_dual_add_f64 v[16:17], v[20:21], -v[16:17] :: v_dual_cndmask_b32 v19, 0, v19, vcc_lo
	v_add_f64_e32 v[20:21], v[26:27], v[12:13]
	v_add_f64_e32 v[22:23], v[16:17], v[20:21]
	v_add_f64_e64 v[32:33], v[20:21], -v[26:27]
	s_delay_alu instid0(VALU_DEP_2) | instskip(NEXT) | instid1(VALU_DEP_2)
	v_add_f64_e32 v[28:29], v[22:23], v[18:19]
	v_add_f64_e64 v[38:39], v[20:21], -v[32:33]
	v_add_f64_e64 v[12:13], v[12:13], -v[32:33]
	;; [unrolled: 1-line block ×3, first 2 shown]
	s_delay_alu instid0(VALU_DEP_4) | instskip(SKIP_1) | instid1(VALU_DEP_3)
	v_cmp_gt_f64_e32 vcc_lo, 0, v[28:29]
	v_add_f64_e64 v[28:29], v[26:27], -v[30:31]
	v_add_f64_e64 v[16:17], v[20:21], -v[16:17]
	s_and_b32 s1, vcc_lo, exec_lo
	s_cselect_b32 s3, 0x40100000, 0
	s_delay_alu instid0(VALU_DEP_2) | instskip(SKIP_3) | instid1(VALU_DEP_4)
	v_add_f64_e64 v[36:37], v[26:27], -v[28:29]
	v_add_f64_e32 v[18:19], s[2:3], v[18:19]
	v_add_f64_e64 v[14:15], v[14:15], -v[28:29]
	v_add_f64_e64 v[26:27], v[26:27], -v[38:39]
	;; [unrolled: 1-line block ×3, first 2 shown]
	s_delay_alu instid0(VALU_DEP_4) | instskip(NEXT) | instid1(VALU_DEP_3)
	v_add_f64_e32 v[34:35], v[22:23], v[18:19]
	v_add_f64_e32 v[12:13], v[12:13], v[26:27]
	s_delay_alu instid0(VALU_DEP_3) | instskip(NEXT) | instid1(VALU_DEP_3)
	v_add_f64_e32 v[14:15], v[14:15], v[28:29]
	v_cvt_i32_f64_e32 v34, v[34:35]
	s_delay_alu instid0(VALU_DEP_2) | instskip(NEXT) | instid1(VALU_DEP_2)
	v_add_f64_e32 v[12:13], v[14:15], v[12:13]
	v_cvt_f64_i32_e32 v[32:33], v34
	s_delay_alu instid0(VALU_DEP_2) | instskip(NEXT) | instid1(VALU_DEP_2)
	v_add_f64_e32 v[10:11], v[10:11], v[12:13]
	v_add_f64_e64 v[18:19], v[18:19], -v[32:33]
	s_delay_alu instid0(VALU_DEP_2) | instskip(NEXT) | instid1(VALU_DEP_2)
	v_add_f64_e32 v[10:11], v[16:17], v[10:11]
	v_add_f64_e32 v[14:15], v[22:23], v[18:19]
	s_delay_alu instid0(VALU_DEP_1) | instskip(SKIP_1) | instid1(VALU_DEP_2)
	v_add_f64_e64 v[12:13], v[14:15], -v[18:19]
	v_cmp_le_f64_e32 vcc_lo, 0.5, v[14:15]
	v_add_f64_e64 v[12:13], v[22:23], -v[12:13]
	s_and_b32 s1, vcc_lo, exec_lo
	s_cselect_b32 s3, 0x3ff00000, 0
	v_add_co_ci_u32_e64 v22, null, 0, v34, vcc_lo
	s_delay_alu instid0(VALU_DEP_2) | instskip(SKIP_1) | instid1(VALU_DEP_1)
	v_add_f64_e32 v[10:11], v[10:11], v[12:13]
	v_add_f64_e64 v[12:13], v[14:15], -s[2:3]
	v_add_f64_e32 v[14:15], v[12:13], v[10:11]
	s_delay_alu instid0(VALU_DEP_1) | instskip(SKIP_1) | instid1(VALU_DEP_2)
	v_mul_f64_e32 v[16:17], 0x3ff921fb54442d18, v[14:15]
	v_add_f64_e64 v[12:13], v[14:15], -v[12:13]
	v_fma_f64 v[18:19], v[14:15], s[4:5], -v[16:17]
	s_delay_alu instid0(VALU_DEP_2) | instskip(NEXT) | instid1(VALU_DEP_2)
	v_add_f64_e64 v[10:11], v[10:11], -v[12:13]
	v_fmamk_f64 v[12:13], v[14:15], 0x3c91a62633145c07, v[18:19]
	s_delay_alu instid0(VALU_DEP_1) | instskip(NEXT) | instid1(VALU_DEP_1)
	v_fmac_f64_e32 v[12:13], 0x3ff921fb54442d18, v[10:11]
	v_add_f64_e32 v[10:11], v[16:17], v[12:13]
	s_delay_alu instid0(VALU_DEP_1) | instskip(NEXT) | instid1(VALU_DEP_1)
	v_add_f64_e64 v[14:15], v[10:11], -v[16:17]
	v_add_f64_e64 v[12:13], v[12:13], -v[14:15]
	s_cbranch_execz .LBB0_8
	s_branch .LBB0_9
.LBB0_7:
                                        ; implicit-def: $vgpr22
                                        ; implicit-def: $vgpr10_vgpr11
                                        ; implicit-def: $vgpr12_vgpr13
.LBB0_8:
	s_mov_b64 s[2:3], 0x3fe45f306dc9c883
	s_delay_alu instid0(SALU_CYCLE_1) | instskip(SKIP_1) | instid1(VALU_DEP_1)
	v_mul_f64_e64 v[10:11], |v[4:5]|, s[2:3]
	s_mov_b64 s[2:3], 0xbff921fb54442d18
	v_rndne_f64_e32 v[14:15], v[10:11]
	s_delay_alu instid0(VALU_DEP_1) | instskip(SKIP_2) | instid1(VALU_DEP_3)
	v_fma_f64 v[10:11], v[14:15], s[2:3], |v[4:5]|
	v_mul_f64_e32 v[12:13], 0xbc91a62633145c00, v[14:15]
	v_cvt_i32_f64_e32 v22, v[14:15]
	v_fmamk_f64 v[20:21], v[14:15], 0xbc91a62633145c00, v[10:11]
	s_delay_alu instid0(VALU_DEP_3) | instskip(NEXT) | instid1(VALU_DEP_1)
	v_add_f64_e32 v[16:17], v[10:11], v[12:13]
	v_add_f64_e64 v[18:19], v[10:11], -v[16:17]
	s_delay_alu instid0(VALU_DEP_3) | instskip(NEXT) | instid1(VALU_DEP_2)
	v_add_f64_e64 v[10:11], v[16:17], -v[20:21]
	v_add_f64_e32 v[16:17], v[18:19], v[12:13]
	v_fmamk_f64 v[12:13], v[14:15], 0x3c91a62633145c00, v[12:13]
	s_delay_alu instid0(VALU_DEP_2) | instskip(NEXT) | instid1(VALU_DEP_1)
	v_add_f64_e32 v[10:11], v[10:11], v[16:17]
	v_add_f64_e64 v[10:11], v[10:11], -v[12:13]
	s_delay_alu instid0(VALU_DEP_1) | instskip(NEXT) | instid1(VALU_DEP_1)
	v_fmamk_f64 v[12:13], v[14:15], 0xb97b839a252049c0, v[10:11]
	v_add_f64_e32 v[10:11], v[20:21], v[12:13]
	s_delay_alu instid0(VALU_DEP_1) | instskip(NEXT) | instid1(VALU_DEP_1)
	v_add_f64_e64 v[16:17], v[10:11], -v[20:21]
	v_add_f64_e64 v[12:13], v[12:13], -v[16:17]
.LBB0_9:
	v_mul_f64_e32 v[14:15], 0x3ff71547652b82fe, v[2:3]
	v_mul_f64_e32 v[16:17], 0x3ff71547652b82fe, v[4:5]
	v_mov_b64_e32 v[24:25], 0x3e928af3fca7ab0c
	v_mov_b64_e32 v[28:29], 0x3ec71dee623fde64
	v_mul_f64_e32 v[30:31], v[10:11], v[10:11]
	v_mov_b64_e32 v[32:33], 0x3f56c16c1852b7b0
	v_mov_b64_e32 v[34:35], 0xbe5ae600b42fdfa7
	;; [unrolled: 1-line block ×7, first 2 shown]
	v_mul_f64_e32 v[56:57], 0.5, v[12:13]
	v_mov_b64_e32 v[48:49], 0xbe927e4fa17f65f6
	v_cmp_class_f64_e64 s3, v[4:5], 0x1f8
	v_mov_b64_e32 v[52:53], 0x3efa01a019f4ec90
	v_cmp_ngt_f64_e64 s1, 0xc090cc00, v[4:5]
	v_cmp_ngt_f64_e64 s6, 0xc090cc00, v[2:3]
	v_cmp_nlt_f64_e32 vcc_lo, 0x40900000, v[4:5]
	v_cmp_nlt_f64_e64 s5, 0x40900000, v[2:3]
	v_rndne_f64_e32 v[14:15], v[14:15]
	v_rndne_f64_e32 v[18:19], v[16:17]
	v_mul_f64_e32 v[40:41], 0.5, v[30:31]
	v_mul_f64_e64 v[58:59], v[10:11], -v[30:31]
	s_delay_alu instid0(VALU_DEP_4) | instskip(NEXT) | instid1(VALU_DEP_4)
	v_fmamk_f64 v[16:17], v[14:15], 0xbfe62e42fefa39ef, v[2:3]
	v_fmamk_f64 v[20:21], v[18:19], 0xbfe62e42fefa39ef, v[4:5]
	v_cvt_i32_f64_e32 v23, v[18:19]
	v_add_f64_e64 v[46:47], -v[40:41], 1.0
	s_delay_alu instid0(VALU_DEP_4) | instskip(NEXT) | instid1(VALU_DEP_4)
	v_fmac_f64_e32 v[16:17], 0xbc7abc9e3b39803f, v[14:15]
	v_fmac_f64_e32 v[20:21], 0xbc7abc9e3b39803f, v[18:19]
	s_delay_alu instid0(VALU_DEP_2) | instskip(NEXT) | instid1(VALU_DEP_2)
	v_fmamk_f64 v[26:27], v[16:17], 0x3e5ade156a5dcb37, v[24:25]
	v_fmac_f64_e32 v[24:25], 0x3e5ade156a5dcb37, v[20:21]
	s_delay_alu instid0(VALU_DEP_2) | instskip(NEXT) | instid1(VALU_DEP_1)
	v_fmaak_f64 v[26:27], v[16:17], v[26:27], 0x3ec71dee623fde64
	v_fmaak_f64 v[26:27], v[16:17], v[26:27], 0x3efa01997c89e6b0
	s_delay_alu instid0(VALU_DEP_1) | instskip(NEXT) | instid1(VALU_DEP_1)
	v_fmaak_f64 v[26:27], v[16:17], v[26:27], 0x3f2a01a014761f6e
	v_fmaak_f64 v[26:27], v[16:17], v[26:27], 0x3f56c16c1852b7b0
	v_fmac_f64_e32 v[28:29], v[20:21], v[24:25]
	v_mov_b64_e32 v[24:25], 0x3efa01997c89e6b0
	s_delay_alu instid0(VALU_DEP_3) | instskip(NEXT) | instid1(VALU_DEP_1)
	v_fmaak_f64 v[26:27], v[16:17], v[26:27], 0x3f81111111122322
	v_fmaak_f64 v[26:27], v[16:17], v[26:27], 0x3fa55555555502a1
	s_delay_alu instid0(VALU_DEP_1) | instskip(NEXT) | instid1(VALU_DEP_1)
	v_fmaak_f64 v[26:27], v[16:17], v[26:27], 0x3fc5555555555511
	v_fmaak_f64 v[26:27], v[16:17], v[26:27], 0x3fe000000000000b
	s_delay_alu instid0(VALU_DEP_1) | instskip(SKIP_2) | instid1(VALU_DEP_1)
	v_fma_f64 v[26:27], v[16:17], v[26:27], 1.0
	v_fmac_f64_e32 v[24:25], v[20:21], v[28:29]
	v_mov_b64_e32 v[28:29], 0x3f2a01a014761f6e
	v_fmac_f64_e32 v[28:29], v[20:21], v[24:25]
	v_mul_f64_e32 v[24:25], v[6:7], v[6:7]
	s_delay_alu instid0(VALU_DEP_2) | instskip(NEXT) | instid1(VALU_DEP_2)
	v_fmac_f64_e32 v[32:33], v[20:21], v[28:29]
	v_fmamk_f64 v[28:29], v[24:25], 0x3de5e0b2f9a43bb8, v[34:35]
	v_fmac_f64_e32 v[34:35], 0x3de5e0b2f9a43bb8, v[30:31]
	v_fmamk_f64 v[44:45], v[24:25], 0xbda907db46cc5e42, v[38:39]
	v_fmac_f64_e32 v[38:39], 0xbda907db46cc5e42, v[30:31]
	s_delay_alu instid0(VALU_DEP_4) | instskip(NEXT) | instid1(VALU_DEP_1)
	v_fmaak_f64 v[28:29], v[24:25], v[28:29], 0x3ec71de3796cde01
	v_fmaak_f64 v[28:29], v[24:25], v[28:29], 0xbf2a01a019e83e5c
	s_delay_alu instid0(VALU_DEP_1)
	v_fmaak_f64 v[28:29], v[24:25], v[28:29], 0x3f81111111110bb3
	v_fmac_f64_e32 v[36:37], v[20:21], v[32:33]
	v_mov_b64_e32 v[32:33], 0x3fa55555555502a1
	v_fmac_f64_e32 v[42:43], v[30:31], v[34:35]
	v_mul_f64_e32 v[34:35], 0.5, v[24:25]
	v_fmac_f64_e32 v[48:49], v[30:31], v[38:39]
	s_delay_alu instid0(VALU_DEP_4)
	v_fmac_f64_e32 v[32:33], v[20:21], v[36:37]
	v_mov_b64_e32 v[36:37], 0x3fc5555555555511
	v_fmac_f64_e32 v[50:51], v[30:31], v[42:43]
	v_add_f64_e64 v[42:43], -v[46:47], 1.0
	v_add_f64_e64 v[38:39], -v[34:35], 1.0
	v_fmac_f64_e32 v[52:53], v[30:31], v[48:49]
	v_mul_f64_e32 v[48:49], 0.5, v[8:9]
	v_fmac_f64_e32 v[36:37], v[20:21], v[32:33]
	v_mov_b64_e32 v[32:33], 0x3fe000000000000b
	v_fmac_f64_e32 v[54:55], v[30:31], v[50:51]
	v_add_f64_e64 v[40:41], v[42:43], -v[40:41]
	v_mul_f64_e64 v[50:51], v[6:7], -v[24:25]
	v_add_f64_e64 v[60:61], -v[38:39], 1.0
	v_mov_b64_e32 v[42:43], 0xbf56c16c16c16967
	s_delay_alu instid0(VALU_DEP_1)
	v_fmac_f64_e32 v[42:43], v[30:31], v[52:53]
	v_fmac_f64_e32 v[32:33], v[20:21], v[36:37]
	v_mul_f64_e32 v[36:37], v[30:31], v[30:31]
	v_fmac_f64_e32 v[56:57], v[58:59], v[54:55]
	v_fma_f64 v[40:41], v[10:11], -v[12:13], v[40:41]
	v_fmac_f64_e32 v[48:49], v[50:51], v[28:29]
	v_add_f64_e64 v[28:29], v[60:61], -v[34:35]
	v_mov_b64_e32 v[34:35], 0x3fa5555555555555
	s_delay_alu instid0(VALU_DEP_1)
	v_fmac_f64_e32 v[34:35], v[30:31], v[42:43]
	v_fma_f64 v[32:33], v[20:21], v[32:33], 1.0
	v_fma_f64 v[12:13], v[30:31], v[56:57], -v[12:13]
	v_fma_f64 v[42:43], v[24:25], v[48:49], -v[8:9]
	v_fma_f64 v[8:9], v[6:7], -v[8:9], v[28:29]
	v_fmaak_f64 v[28:29], v[24:25], v[44:45], 0xbe927e4fa17f65f6
	v_fmac_f64_e32 v[40:41], v[36:37], v[34:35]
	v_fma_f64 v[18:19], v[20:21], v[32:33], 1.0
	s_delay_alu instid0(VALU_DEP_3) | instskip(SKIP_2) | instid1(VALU_DEP_3)
	v_fmaak_f64 v[20:21], v[24:25], v[28:29], 0x3efa01a019f4ec90
	v_fmac_f64_e32 v[12:13], 0xbfc5555555555555, v[58:59]
	v_fmac_f64_e32 v[42:43], 0xbfc5555555555555, v[50:51]
	v_fmaak_f64 v[20:21], v[24:25], v[20:21], 0xbf56c16c16c16967
	s_delay_alu instid0(VALU_DEP_1) | instskip(NEXT) | instid1(VALU_DEP_4)
	v_fmaak_f64 v[20:21], v[24:25], v[20:21], 0x3fa5555555555555
	v_add_f64_e64 v[10:11], v[10:11], -v[12:13]
	v_mul_f64_e32 v[30:31], v[24:25], v[24:25]
	v_add_f64_e64 v[6:7], v[6:7], -v[42:43]
	s_delay_alu instid0(VALU_DEP_2) | instskip(SKIP_4) | instid1(VALU_DEP_1)
	v_fmac_f64_e32 v[8:9], v[30:31], v[20:21]
	v_cvt_i32_f64_e32 v20, v[14:15]
	v_fma_f64 v[14:15], v[16:17], v[26:27], 1.0
	v_ldexp_f64 v[16:17], v[18:19], v23
	v_and_b32_e32 v21, 1, v22
	v_cmp_eq_u32_e64 s2, 0, v21
	v_add_f64_e32 v[8:9], v[38:39], v[8:9]
	v_ldexp_f64 v[12:13], v[14:15], v20
	v_cndmask_b32_e32 v14, 0x7ff00000, v17, vcc_lo
	v_dual_lshlrev_b32 v15, 30, v22 :: v_dual_bitop2_b32 v17, 1, v1 bitop3:0x40
	s_and_b32 vcc_lo, s1, vcc_lo
	v_lshlrev_b32_e32 v1, 30, v1
	s_delay_alu instid0(VALU_DEP_2) | instskip(SKIP_2) | instid1(VALU_DEP_4)
	v_cmp_eq_u32_e64 s4, 0, v17
	v_add_f64_e32 v[18:19], v[46:47], v[40:41]
	v_xor_b32_e32 v15, v15, v5
	v_xor_b32_e32 v1, v1, v3
	s_delay_alu instid0(VALU_DEP_2) | instskip(NEXT) | instid1(VALU_DEP_2)
	v_and_b32_e32 v15, 0x80000000, v15
	v_and_b32_e32 v1, 0x80000000, v1
	v_cndmask_b32_e64 v8, v8, v6, s4
	v_cndmask_b32_e64 v13, 0x7ff00000, v13, s5
	v_cndmask_b32_e64 v6, v19, v11, s2
	s_delay_alu instid0(VALU_DEP_1) | instskip(SKIP_2) | instid1(VALU_DEP_2)
	v_dual_cndmask_b32 v15, 0, v14, s1 :: v_dual_bitop2_b32 v6, v6, v15 bitop3:0x14
	v_cndmask_b32_e32 v14, 0, v16, vcc_lo
	s_and_b32 vcc_lo, s6, s5
	v_cndmask_b32_e64 v11, 0x7ff80000, v6, s3
	v_dual_cndmask_b32 v6, v9, v7, s4 :: v_dual_cndmask_b32 v10, v18, v10, s2
	v_cmp_class_f64_e64 s2, v[2:3], 0x1f8
	v_cndmask_b32_e64 v7, 0, v13, s6
	s_delay_alu instid0(VALU_DEP_3) | instskip(NEXT) | instid1(VALU_DEP_1)
	v_dual_cndmask_b32 v10, 0, v10, s3 :: v_dual_bitop2_b32 v1, v6, v1 bitop3:0x14
	v_dual_mul_f64 v[10:11], v[14:15], v[10:11] :: v_dual_cndmask_b32 v6, 0, v12, vcc_lo
	s_delay_alu instid0(VALU_DEP_4) | instskip(NEXT) | instid1(VALU_DEP_3)
	v_cndmask_b32_e64 v8, 0, v8, s2
	v_cndmask_b32_e64 v9, 0x7ff80000, v1, s2
	v_mov_b32_e32 v1, s13
	s_delay_alu instid0(VALU_DEP_2)
	v_fmac_f64_e32 v[10:11], v[6:7], v[8:9]
	scratch_store_b64 off, v[10:11], off
.LBB0_10:
	s_wait_xcnt 0x0
	s_or_b32 exec_lo, exec_lo, s7
	v_dual_add_f64 v[6:7], v[4:5], -v[2:3] :: v_dual_sub_nc_u32 v22, 0, v1
	v_mov_b64_e32 v[8:9], 0x3e928af3fca7ab0c
	v_mov_b64_e32 v[10:11], 0x3e21eeb69037ab78
	;; [unrolled: 1-line block ×3, first 2 shown]
	v_mov_b32_e32 v14, 0
	s_movk_i32 s14, 0x80
	s_mov_b64 s[4:5], 0x3ff921fb54442d18
	s_mov_b64 s[6:7], 0x3fe45f306dc9c883
	;; [unrolled: 1-line block ×3, first 2 shown]
	s_mov_b32 s15, 0
                                        ; implicit-def: $vgpr16_vgpr17
                                        ; implicit-def: $vgpr16_vgpr17
	;; [unrolled: 1-line block ×15, first 2 shown]
	v_ldexp_f64 v[4:5], v[6:7], -16
	s_branch .LBB0_12
.LBB0_11:                               ;   in Loop: Header=BB0_12 Depth=1
	s_or_b32 exec_lo, exec_lo, s1
	s_delay_alu instid0(VALU_DEP_1) | instskip(SKIP_3) | instid1(VALU_DEP_4)
	v_dual_mul_f64 v[42:43], 0.5, v[20:21] :: v_dual_bitop2_b32 v15, v1, v22 bitop3:0x40
	v_mul_f64_e32 v[26:27], v[18:19], v[18:19]
	v_cmp_ngt_f64_e64 s1, 0xc090cc00, v[16:17]
	v_cmp_class_f64_e64 s3, v[16:17], 0x1f8
	v_cvt_f32_u32_e32 v15, v15
	v_subrev_nc_u32_e32 v22, s13, v22
	v_add_nc_u32_e32 v1, s13, v1
	s_delay_alu instid0(VALU_DEP_3) | instskip(SKIP_1) | instid1(VALU_DEP_1)
	v_cmp_gt_f32_e32 vcc_lo, 0x800000, v15
	v_cndmask_b32_e64 v24, 0, 32, vcc_lo
	v_ldexp_f32 v15, v15, v24
	v_cndmask_b32_e64 v24, 0, 0x42000000, vcc_lo
	v_cmp_nlt_f64_e32 vcc_lo, 0x40900000, v[16:17]
	s_delay_alu instid0(VALU_DEP_3) | instskip(SKIP_1) | instid1(TRANS32_DEP_1)
	v_log_f32_e32 v15, v15
	v_nop
	v_sub_f32_e32 v15, v15, v24
	v_mul_f64_e32 v[24:25], 0x3ff71547652b82fe, v[16:17]
	s_delay_alu instid0(VALU_DEP_1) | instskip(NEXT) | instid1(VALU_DEP_1)
	v_rndne_f64_e32 v[24:25], v[24:25]
	v_fmamk_f64 v[32:33], v[24:25], 0xbfe62e42fefa39ef, v[16:17]
	v_lshlrev_b32_e32 v16, 30, v23
	s_delay_alu instid0(VALU_DEP_1) | instskip(NEXT) | instid1(VALU_DEP_3)
	v_xor_b32_e32 v16, v16, v17
	v_fmac_f64_e32 v[32:33], 0xbc7abc9e3b39803f, v[24:25]
	v_mul_f64_e32 v[30:31], 0.5, v[26:27]
	v_mul_f64_e64 v[40:41], v[18:19], -v[26:27]
	v_cvt_i32_f64_e32 v24, v[24:25]
	v_fmamk_f64 v[44:45], v[26:27], 0x3de5e0b2f9a43bb8, v[12:13]
	s_delay_alu instid0(VALU_DEP_1) | instskip(NEXT) | instid1(VALU_DEP_1)
	v_fmaak_f64 v[44:45], v[26:27], v[44:45], 0x3ec71de3796cde01
	v_fmaak_f64 v[44:45], v[26:27], v[44:45], 0xbf2a01a019e83e5c
	s_delay_alu instid0(VALU_DEP_1) | instskip(SKIP_2) | instid1(VALU_DEP_3)
	v_fmaak_f64 v[44:45], v[26:27], v[44:45], 0x3f81111111110bb3
	v_fmamk_f64 v[36:37], v[32:33], 0x3e5ade156a5dcb37, v[8:9]
	v_add_f64_e64 v[34:35], -v[30:31], 1.0
	v_fmac_f64_e32 v[42:43], v[40:41], v[44:45]
	v_mul_f64_e32 v[44:45], v[26:27], v[26:27]
	s_delay_alu instid0(VALU_DEP_4) | instskip(NEXT) | instid1(VALU_DEP_1)
	v_fmaak_f64 v[36:37], v[32:33], v[36:37], 0x3ec71dee623fde64
	v_fmaak_f64 v[36:37], v[32:33], v[36:37], 0x3efa01997c89e6b0
	s_delay_alu instid0(VALU_DEP_1) | instskip(NEXT) | instid1(VALU_DEP_1)
	v_fmaak_f64 v[36:37], v[32:33], v[36:37], 0x3f2a01a014761f6e
	v_fmaak_f64 v[36:37], v[32:33], v[36:37], 0x3f56c16c1852b7b0
	v_add_f64_e64 v[38:39], -v[34:35], 1.0
	s_delay_alu instid0(VALU_DEP_2) | instskip(NEXT) | instid1(VALU_DEP_1)
	v_fmaak_f64 v[36:37], v[32:33], v[36:37], 0x3f81111111122322
	v_fmaak_f64 v[36:37], v[32:33], v[36:37], 0x3fa55555555502a1
	s_delay_alu instid0(VALU_DEP_1) | instskip(NEXT) | instid1(VALU_DEP_1)
	v_fmaak_f64 v[36:37], v[32:33], v[36:37], 0x3fc5555555555511
	v_fmaak_f64 v[36:37], v[32:33], v[36:37], 0x3fe000000000000b
	s_delay_alu instid0(VALU_DEP_1) | instskip(NEXT) | instid1(VALU_DEP_1)
	v_fma_f64 v[36:37], v[32:33], v[36:37], 1.0
	v_fma_f64 v[32:33], v[32:33], v[36:37], 1.0
	s_delay_alu instid0(VALU_DEP_1) | instskip(SKIP_3) | instid1(VALU_DEP_2)
	v_ldexp_f64 v[24:25], v[32:33], v24
	v_add_f64_e64 v[30:31], v[38:39], -v[30:31]
	v_fmamk_f64 v[38:39], v[26:27], 0xbda907db46cc5e42, v[10:11]
	v_add_f32_e32 v15, 1.0, v15
	v_fmaak_f64 v[38:39], v[26:27], v[38:39], 0xbe927e4fa17f65f6
	s_delay_alu instid0(VALU_DEP_1) | instskip(NEXT) | instid1(VALU_DEP_1)
	v_fmaak_f64 v[38:39], v[26:27], v[38:39], 0x3efa01a019f4ec90
	v_fmaak_f64 v[38:39], v[26:27], v[38:39], 0xbf56c16c16c16967
	v_fma_f64 v[30:31], v[18:19], -v[20:21], v[30:31]
	v_fma_f64 v[20:21], v[26:27], v[42:43], -v[20:21]
	s_delay_alu instid0(VALU_DEP_3) | instskip(SKIP_1) | instid1(VALU_DEP_2)
	v_fmaak_f64 v[26:27], v[26:27], v[38:39], 0x3fa5555555555555
	v_cvt_u32_f32_e32 v15, v15
	v_fmac_f64_e32 v[30:31], v[44:45], v[26:27]
	s_delay_alu instid0(VALU_DEP_4) | instskip(NEXT) | instid1(VALU_DEP_3)
	v_fmac_f64_e32 v[20:21], 0xbfc5555555555555, v[40:41]
	v_lshlrev_b32_e32 v15, 3, v15
	s_delay_alu instid0(VALU_DEP_3) | instskip(NEXT) | instid1(VALU_DEP_3)
	v_add_f64_e32 v[26:27], v[34:35], v[30:31]
	v_dual_add_f64 v[18:19], v[18:19], -v[20:21] :: v_dual_bitop2_b32 v20, 1, v23 bitop3:0x40
	v_cndmask_b32_e32 v21, 0x7ff00000, v25, vcc_lo
	s_and_b32 vcc_lo, s1, vcc_lo
	s_delay_alu instid0(VALU_DEP_2) | instskip(NEXT) | instid1(VALU_DEP_2)
	v_cmp_eq_u32_e64 s2, 0, v20
	v_dual_sub_nc_u32 v15, 0, v15 :: v_dual_cndmask_b32 v17, 0, v21, s1
	s_delay_alu instid0(VALU_DEP_2) | instskip(SKIP_2) | instid1(VALU_DEP_1)
	v_cndmask_b32_e64 v18, v26, v18, s2
	scratch_load_b64 v[28:29], v15, off offset:136
	v_dual_cndmask_b32 v19, v27, v19, s2 :: v_dual_cndmask_b32 v18, 0, v18, s3
	v_bitop3_b32 v19, v19, v16, 0x80000000 bitop3:0x78
	v_cndmask_b32_e32 v16, 0, v24, vcc_lo
	v_cmp_lt_u32_e32 vcc_lo, 0xffff, v1
	s_delay_alu instid0(VALU_DEP_3) | instskip(SKIP_1) | instid1(VALU_DEP_1)
	v_cndmask_b32_e64 v19, 0x7ff80000, v19, s3
	s_or_b32 s15, vcc_lo, s15
	v_mul_f64_e32 v[16:17], v[16:17], v[18:19]
	s_wait_loadcnt 0x0
	s_delay_alu instid0(VALU_DEP_1)
	v_fmac_f64_e32 v[28:29], 2.0, v[16:17]
	scratch_store_b64 v15, v[28:29], off offset:136
	s_wait_xcnt 0x0
	s_and_not1_b32 exec_lo, exec_lo, s15
	s_cbranch_execz .LBB0_16
.LBB0_12:                               ; =>This Inner Loop Header: Depth=1
	v_cvt_f64_u32_e32 v[16:17], v1
                                        ; implicit-def: $vgpr23
                                        ; implicit-def: $vgpr18_vgpr19
                                        ; implicit-def: $vgpr20_vgpr21
	s_delay_alu instid0(VALU_DEP_1) | instskip(NEXT) | instid1(VALU_DEP_1)
	v_fma_f64 v[16:17], v[4:5], v[16:17], v[2:3]
	v_cmp_ngt_f64_e64 s1, 0x41d00000, |v[16:17]|
	s_and_saveexec_b32 s2, s1
	s_delay_alu instid0(SALU_CYCLE_1)
	s_xor_b32 s1, exec_lo, s2
	s_cbranch_execz .LBB0_14
; %bb.13:                               ;   in Loop: Header=BB0_12 Depth=1
	v_ldexp_f64 v[18:19], |v[16:17]|, 0xffffff80
	v_cmp_le_f64_e64 vcc_lo, 0x7b000000, |v[16:17]|
	v_trig_preop_f64 v[20:21], |v[16:17]|, 0
	v_and_b32_e32 v15, 0x7fffffff, v17
	v_trig_preop_f64 v[24:25], |v[16:17]|, 1
	v_trig_preop_f64 v[34:35], |v[16:17]|, 2
	s_delay_alu instid0(VALU_DEP_3) | instskip(NEXT) | instid1(VALU_DEP_1)
	v_dual_cndmask_b32 v19, v15, v19 :: v_dual_cndmask_b32 v18, v16, v18
	v_mul_f64_e32 v[26:27], v[20:21], v[18:19]
	s_delay_alu instid0(VALU_DEP_4) | instskip(NEXT) | instid1(VALU_DEP_4)
	v_mul_f64_e32 v[28:29], v[24:25], v[18:19]
	v_mul_f64_e32 v[40:41], v[34:35], v[18:19]
	s_delay_alu instid0(VALU_DEP_3) | instskip(NEXT) | instid1(VALU_DEP_3)
	v_fma_f64 v[20:21], v[20:21], v[18:19], -v[26:27]
	v_fma_f64 v[24:25], v[24:25], v[18:19], -v[28:29]
	s_delay_alu instid0(VALU_DEP_3) | instskip(NEXT) | instid1(VALU_DEP_3)
	v_fma_f64 v[18:19], v[34:35], v[18:19], -v[40:41]
	v_add_f64_e32 v[30:31], v[28:29], v[20:21]
	s_delay_alu instid0(VALU_DEP_1) | instskip(SKIP_1) | instid1(VALU_DEP_2)
	v_add_f64_e64 v[32:33], v[30:31], -v[28:29]
	v_add_f64_e32 v[38:39], v[26:27], v[30:31]
	v_add_f64_e64 v[36:37], v[30:31], -v[32:33]
	v_add_f64_e64 v[20:21], v[20:21], -v[32:33]
	s_delay_alu instid0(VALU_DEP_3) | instskip(NEXT) | instid1(VALU_DEP_3)
	v_ldexp_f64 v[32:33], v[38:39], -2
	v_add_f64_e64 v[28:29], v[28:29], -v[36:37]
	v_add_f64_e32 v[36:37], v[40:41], v[24:25]
	s_delay_alu instid0(VALU_DEP_3) | instskip(NEXT) | instid1(VALU_DEP_3)
	v_cmp_neq_f64_e64 vcc_lo, 0x7ff00000, |v[32:33]|
	v_add_f64_e32 v[20:21], v[20:21], v[28:29]
	v_fract_f64_e32 v[28:29], v[32:33]
	s_delay_alu instid0(VALU_DEP_1) | instskip(NEXT) | instid1(VALU_DEP_1)
	v_ldexp_f64 v[28:29], v[28:29], 2
	v_dual_add_f64 v[26:27], v[38:39], -v[26:27] :: v_dual_cndmask_b32 v29, 0, v29, vcc_lo
	s_delay_alu instid0(VALU_DEP_1) | instskip(SKIP_1) | instid1(VALU_DEP_1)
	v_dual_add_f64 v[26:27], v[30:31], -v[26:27] :: v_dual_cndmask_b32 v28, 0, v28, vcc_lo
	v_add_f64_e32 v[30:31], v[36:37], v[20:21]
	v_add_f64_e32 v[32:33], v[26:27], v[30:31]
	v_add_f64_e64 v[42:43], v[30:31], -v[36:37]
	s_delay_alu instid0(VALU_DEP_2) | instskip(NEXT) | instid1(VALU_DEP_2)
	v_add_f64_e32 v[38:39], v[32:33], v[28:29]
	v_add_f64_e64 v[48:49], v[30:31], -v[42:43]
	v_add_f64_e64 v[20:21], v[20:21], -v[42:43]
	;; [unrolled: 1-line block ×3, first 2 shown]
	s_delay_alu instid0(VALU_DEP_4) | instskip(SKIP_1) | instid1(VALU_DEP_3)
	v_cmp_gt_f64_e32 vcc_lo, 0, v[38:39]
	v_add_f64_e64 v[38:39], v[36:37], -v[40:41]
	v_add_f64_e64 v[26:27], v[30:31], -v[26:27]
	v_cndmask_b32_e64 v15, 0, 0x40100000, vcc_lo
	s_delay_alu instid0(VALU_DEP_3) | instskip(SKIP_2) | instid1(VALU_DEP_4)
	v_add_f64_e64 v[46:47], v[36:37], -v[38:39]
	v_add_f64_e64 v[24:25], v[24:25], -v[38:39]
	;; [unrolled: 1-line block ×3, first 2 shown]
	v_add_f64_e32 v[28:29], v[28:29], v[14:15]
	s_delay_alu instid0(VALU_DEP_4) | instskip(NEXT) | instid1(VALU_DEP_3)
	v_add_f64_e64 v[38:39], v[40:41], -v[46:47]
	v_add_f64_e32 v[20:21], v[20:21], v[36:37]
	s_delay_alu instid0(VALU_DEP_3) | instskip(NEXT) | instid1(VALU_DEP_3)
	v_add_f64_e32 v[44:45], v[32:33], v[28:29]
	v_add_f64_e32 v[24:25], v[24:25], v[38:39]
	s_delay_alu instid0(VALU_DEP_2) | instskip(NEXT) | instid1(VALU_DEP_2)
	v_cvt_i32_f64_e32 v15, v[44:45]
	v_add_f64_e32 v[20:21], v[24:25], v[20:21]
	s_delay_alu instid0(VALU_DEP_2) | instskip(NEXT) | instid1(VALU_DEP_2)
	v_cvt_f64_i32_e32 v[42:43], v15
	v_add_f64_e32 v[18:19], v[18:19], v[20:21]
	s_delay_alu instid0(VALU_DEP_2) | instskip(NEXT) | instid1(VALU_DEP_2)
	v_add_f64_e64 v[28:29], v[28:29], -v[42:43]
	v_add_f64_e32 v[18:19], v[26:27], v[18:19]
	s_delay_alu instid0(VALU_DEP_2) | instskip(NEXT) | instid1(VALU_DEP_1)
	v_add_f64_e32 v[24:25], v[32:33], v[28:29]
	v_add_f64_e64 v[20:21], v[24:25], -v[28:29]
	v_cmp_le_f64_e32 vcc_lo, 0.5, v[24:25]
	s_delay_alu instid0(VALU_DEP_2) | instskip(SKIP_2) | instid1(VALU_DEP_3)
	v_add_f64_e64 v[20:21], v[32:33], -v[20:21]
	v_add_co_ci_u32_e64 v23, null, 0, v15, vcc_lo
	v_cndmask_b32_e64 v15, 0, 0x3ff00000, vcc_lo
	v_add_f64_e32 v[18:19], v[18:19], v[20:21]
	s_delay_alu instid0(VALU_DEP_2) | instskip(NEXT) | instid1(VALU_DEP_1)
	v_add_f64_e64 v[20:21], v[24:25], -v[14:15]
	v_add_f64_e32 v[24:25], v[20:21], v[18:19]
	s_delay_alu instid0(VALU_DEP_1) | instskip(SKIP_1) | instid1(VALU_DEP_2)
	v_mul_f64_e32 v[26:27], 0x3ff921fb54442d18, v[24:25]
	v_add_f64_e64 v[20:21], v[24:25], -v[20:21]
	v_fma_f64 v[28:29], v[24:25], s[4:5], -v[26:27]
	s_delay_alu instid0(VALU_DEP_2) | instskip(NEXT) | instid1(VALU_DEP_2)
	v_add_f64_e64 v[18:19], v[18:19], -v[20:21]
	v_fmac_f64_e32 v[28:29], 0x3c91a62633145c07, v[24:25]
	s_delay_alu instid0(VALU_DEP_1) | instskip(NEXT) | instid1(VALU_DEP_1)
	v_fmac_f64_e32 v[28:29], 0x3ff921fb54442d18, v[18:19]
	v_add_f64_e32 v[18:19], v[26:27], v[28:29]
	s_delay_alu instid0(VALU_DEP_1) | instskip(NEXT) | instid1(VALU_DEP_1)
	v_add_f64_e64 v[20:21], v[18:19], -v[26:27]
	v_add_f64_e64 v[20:21], v[28:29], -v[20:21]
.LBB0_14:                               ;   in Loop: Header=BB0_12 Depth=1
	s_and_not1_saveexec_b32 s1, s1
	s_cbranch_execz .LBB0_11
; %bb.15:                               ;   in Loop: Header=BB0_12 Depth=1
	v_mul_f64_e64 v[18:19], |v[16:17]|, s[6:7]
	s_delay_alu instid0(VALU_DEP_1) | instskip(NEXT) | instid1(VALU_DEP_1)
	v_rndne_f64_e32 v[24:25], v[18:19]
	v_fma_f64 v[18:19], v[24:25], s[10:11], |v[16:17]|
	v_mul_f64_e32 v[20:21], 0xbc91a62633145c00, v[24:25]
	v_cvt_i32_f64_e32 v23, v[24:25]
	s_delay_alu instid0(VALU_DEP_3) | instskip(NEXT) | instid1(VALU_DEP_3)
	v_fmamk_f64 v[30:31], v[24:25], 0xbc91a62633145c00, v[18:19]
	v_add_f64_e32 v[26:27], v[18:19], v[20:21]
	s_delay_alu instid0(VALU_DEP_1) | instskip(NEXT) | instid1(VALU_DEP_3)
	v_add_f64_e64 v[28:29], v[18:19], -v[26:27]
	v_add_f64_e64 v[18:19], v[26:27], -v[30:31]
	s_delay_alu instid0(VALU_DEP_2) | instskip(SKIP_1) | instid1(VALU_DEP_2)
	v_add_f64_e32 v[26:27], v[28:29], v[20:21]
	v_fmamk_f64 v[20:21], v[24:25], 0x3c91a62633145c00, v[20:21]
	v_add_f64_e32 v[18:19], v[18:19], v[26:27]
	s_delay_alu instid0(VALU_DEP_1) | instskip(NEXT) | instid1(VALU_DEP_1)
	v_add_f64_e64 v[20:21], v[18:19], -v[20:21]
	v_fmac_f64_e32 v[20:21], 0xb97b839a252049c0, v[24:25]
	s_delay_alu instid0(VALU_DEP_1) | instskip(NEXT) | instid1(VALU_DEP_1)
	v_add_f64_e32 v[18:19], v[30:31], v[20:21]
	v_add_f64_e64 v[26:27], v[18:19], -v[30:31]
	s_delay_alu instid0(VALU_DEP_1)
	v_add_f64_e64 v[20:21], v[20:21], -v[26:27]
	s_branch .LBB0_11
.LBB0_16:
	s_or_b32 exec_lo, exec_lo, s15
	s_clause 0x8
	scratch_load_b128 v[8:11], off, off
	scratch_load_b128 v[12:15], off, off offset:16
	scratch_load_b128 v[16:19], off, off offset:32
	;; [unrolled: 1-line block ×7, first 2 shown]
	scratch_load_b64 v[2:3], off, off offset:128
	v_mad_u32_u24 v1, 0x88, v0, 0
	s_mov_b32 s1, exec_lo
	s_wait_loadcnt 0x8
	ds_store_2addr_b64 v1, v[8:9], v[10:11] offset1:1
	s_wait_loadcnt 0x7
	ds_store_2addr_b64 v1, v[12:13], v[14:15] offset0:2 offset1:3
	s_wait_loadcnt 0x6
	ds_store_2addr_b64 v1, v[16:17], v[18:19] offset0:4 offset1:5
	;; [unrolled: 2-line block ×7, first 2 shown]
	s_wait_loadcnt 0x0
	ds_store_b64 v1, v[2:3] offset:128
	s_wait_storecnt_dscnt 0x0
	s_barrier_signal -1
	s_barrier_wait -1
	s_wait_xcnt 0x0
	v_cmpx_gt_u32_e32 17, v0
	s_cbranch_execnz .LBB0_19
; %bb.17:
	s_or_b32 exec_lo, exec_lo, s1
	s_and_saveexec_b32 s1, s0
	s_cbranch_execnz .LBB0_24
.LBB0_18:
	s_endpgm
.LBB0_19:
	v_mov_b64_e32 v[2:3], 0
	s_mul_i32 s13, s13, 17
	s_mov_b32 s2, exec_lo
	v_cmpx_gt_u32_e64 s13, v0
	s_cbranch_execz .LBB0_23
; %bb.20:
	v_mov_b64_e32 v[2:3], 0
	v_lshl_add_u32 v8, v0, 3, 0
	v_mov_b32_e32 v9, v0
	s_mov_b32 s3, 0
.LBB0_21:                               ; =>This Inner Loop Header: Depth=1
	ds_load_b64 v[10:11], v8
	v_add_nc_u32_e32 v8, 0x88, v8
	v_add_nc_u32_e32 v9, 17, v9
	s_delay_alu instid0(VALU_DEP_1)
	v_cmp_le_u32_e32 vcc_lo, s13, v9
	s_or_b32 s3, vcc_lo, s3
	s_wait_dscnt 0x0
	v_add_f64_e32 v[2:3], v[2:3], v[10:11]
	s_and_not1_b32 exec_lo, exec_lo, s3
	s_cbranch_execnz .LBB0_21
; %bb.22:
	s_or_b32 exec_lo, exec_lo, s3
.LBB0_23:
	s_delay_alu instid0(SALU_CYCLE_1) | instskip(SKIP_1) | instid1(VALU_DEP_1)
	s_or_b32 exec_lo, exec_lo, s2
	v_lshlrev_b32_e32 v0, 7, v0
	v_sub_nc_u32_e32 v0, v1, v0
	ds_store_b64 v0, v[2:3]
	s_or_b32 exec_lo, exec_lo, s1
	s_and_saveexec_b32 s1, s0
	s_cbranch_execz .LBB0_18
.LBB0_24:
	v_mov_b32_e32 v46, 0
	v_ldexp_f64 v[42:43], v[6:7], -4
	v_ldexp_f64 v[48:49], v[6:7], -6
	;; [unrolled: 1-line block ×4, first 2 shown]
	ds_load_2addr_b64 v[0:3], v46 offset1:1
	ds_load_2addr_b64 v[8:11], v46 offset0:2 offset1:3
	v_ldexp_f64 v[54:55], v[6:7], -9
	v_ldexp_f64 v[56:57], v[6:7], -10
	;; [unrolled: 1-line block ×6, first 2 shown]
	s_movk_i32 s0, 0x78
	s_mov_b32 s1, 0
	s_wait_dscnt 0x1
	v_add_f64_e32 v[2:3], v[0:1], v[2:3]
	s_wait_dscnt 0x0
	s_delay_alu instid0(VALU_DEP_1) | instskip(NEXT) | instid1(VALU_DEP_1)
	v_add_f64_e32 v[16:17], v[2:3], v[8:9]
	v_add_f64_e32 v[18:19], v[16:17], v[10:11]
	ds_load_2addr_b64 v[8:11], v46 offset0:4 offset1:5
	ds_load_2addr_b64 v[12:15], v46 offset0:6 offset1:7
	s_wait_dscnt 0x1
	v_add_f64_e32 v[20:21], v[18:19], v[8:9]
	s_delay_alu instid0(VALU_DEP_1) | instskip(SKIP_1) | instid1(VALU_DEP_1)
	v_add_f64_e32 v[22:23], v[20:21], v[10:11]
	s_wait_dscnt 0x0
	v_add_f64_e32 v[24:25], v[22:23], v[12:13]
	s_delay_alu instid0(VALU_DEP_1) | instskip(SKIP_4) | instid1(VALU_DEP_1)
	v_add_f64_e32 v[26:27], v[24:25], v[14:15]
	ds_load_2addr_b64 v[8:11], v46 offset0:8 offset1:9
	ds_load_2addr_b64 v[12:15], v46 offset0:10 offset1:11
	s_wait_dscnt 0x1
	v_add_f64_e32 v[28:29], v[26:27], v[8:9]
	v_add_f64_e32 v[30:31], v[28:29], v[10:11]
	s_wait_dscnt 0x0
	s_delay_alu instid0(VALU_DEP_1) | instskip(NEXT) | instid1(VALU_DEP_1)
	v_add_f64_e32 v[32:33], v[30:31], v[12:13]
	v_add_f64_e32 v[34:35], v[32:33], v[14:15]
	ds_load_2addr_b64 v[8:11], v46 offset0:12 offset1:13
	ds_load_2addr_b64 v[12:15], v46 offset0:14 offset1:15
	s_wait_dscnt 0x1
	v_add_f64_e32 v[36:37], v[34:35], v[8:9]
	v_mul_f64_e32 v[8:9], 0.5, v[6:7]
	s_delay_alu instid0(VALU_DEP_2) | instskip(SKIP_1) | instid1(VALU_DEP_3)
	v_add_f64_e32 v[38:39], v[36:37], v[10:11]
	v_ldexp_f64 v[10:11], v[6:7], -2
	v_mul_f64_e32 v[0:1], v[8:9], v[0:1]
	s_wait_dscnt 0x0
	s_delay_alu instid0(VALU_DEP_3) | instskip(SKIP_1) | instid1(VALU_DEP_4)
	v_add_f64_e32 v[40:41], v[38:39], v[12:13]
	v_ldexp_f64 v[12:13], v[6:7], -3
	v_mul_f64_e32 v[2:3], v[10:11], v[2:3]
	v_mul_f64_e32 v[10:11], v[42:43], v[18:19]
	v_ldexp_f64 v[42:43], v[6:7], -14
	v_mul_f64_e32 v[18:19], v[52:53], v[26:27]
	v_mul_f64_e32 v[26:27], v[60:61], v[34:35]
	v_add_f64_e32 v[44:45], v[40:41], v[14:15]
	ds_load_b64 v[14:15], v46 offset:128
	v_ldexp_f64 v[46:47], v[6:7], -5
	v_ldexp_f64 v[6:7], v[6:7], 0xffffffef
	v_mul_f64_e32 v[8:9], v[12:13], v[16:17]
	v_mul_f64_e32 v[16:17], v[50:51], v[24:25]
	;; [unrolled: 1-line block ×4, first 2 shown]
	s_wait_dscnt 0x0
	v_add_f64_e32 v[66:67], v[44:45], v[14:15]
	v_mul_f64_e32 v[14:15], v[48:49], v[22:23]
	v_mul_f64_e32 v[12:13], v[46:47], v[20:21]
	;; [unrolled: 1-line block ×8, first 2 shown]
	s_clause 0x8
	scratch_store_b128 off, v[0:3], off
	scratch_store_b128 off, v[8:11], off offset:16
	scratch_store_b128 off, v[12:15], off offset:32
	;; [unrolled: 1-line block ×7, first 2 shown]
	scratch_store_b64 off, v[4:5], off offset:128
.LBB0_25:                               ; =>This Loop Header: Depth=1
                                        ;     Child Loop BB0_26 Depth 2
                                        ;     Child Loop BB0_28 Depth 2
	s_lshl_b32 s2, s1, 1
	s_mov_b32 s3, 16
	s_lshl_b32 s2, 2, s2
	s_delay_alu instid0(SALU_CYCLE_1)
	s_add_co_i32 s2, s2, -1
	s_wait_xcnt 0x8
	v_cvt_f64_u32_e32 v[0:1], s2
	s_mov_b32 s2, s0
.LBB0_26:                               ;   Parent Loop BB0_25 Depth=1
                                        ; =>  This Inner Loop Header: Depth=2
	scratch_load_b128 v[2:5], off, s2
	s_add_co_i32 s3, s3, -1
	s_wait_loadcnt 0x0
	v_add_f64_e64 v[2:3], v[4:5], -v[2:3]
	s_delay_alu instid0(VALU_DEP_1) | instskip(SKIP_1) | instid1(VALU_DEP_2)
	v_div_scale_f64 v[6:7], null, v[0:1], v[0:1], v[2:3]
	v_div_scale_f64 v[12:13], vcc_lo, v[2:3], v[0:1], v[2:3]
	v_rcp_f64_e32 v[8:9], v[6:7]
	v_nop
	s_delay_alu instid0(TRANS32_DEP_1) | instskip(NEXT) | instid1(VALU_DEP_1)
	v_fma_f64 v[10:11], -v[6:7], v[8:9], 1.0
	v_fmac_f64_e32 v[8:9], v[8:9], v[10:11]
	s_delay_alu instid0(VALU_DEP_1) | instskip(NEXT) | instid1(VALU_DEP_1)
	v_fma_f64 v[10:11], -v[6:7], v[8:9], 1.0
	v_fmac_f64_e32 v[8:9], v[8:9], v[10:11]
	s_delay_alu instid0(VALU_DEP_1) | instskip(NEXT) | instid1(VALU_DEP_1)
	v_mul_f64_e32 v[10:11], v[12:13], v[8:9]
	v_fma_f64 v[6:7], -v[6:7], v[10:11], v[12:13]
	s_delay_alu instid0(VALU_DEP_1) | instskip(NEXT) | instid1(VALU_DEP_1)
	v_div_fmas_f64 v[6:7], v[6:7], v[8:9], v[10:11]
	v_div_fixup_f64 v[2:3], v[6:7], v[0:1], v[2:3]
	s_delay_alu instid0(VALU_DEP_1)
	v_add_f64_e32 v[2:3], v[4:5], v[2:3]
	scratch_store_b64 off, v[2:3], s2 offset:8
	s_wait_xcnt 0x0
	s_add_co_i32 s2, s2, -8
	s_cmp_le_u32 s3, s1
	s_cbranch_scc0 .LBB0_26
; %bb.27:                               ;   in Loop: Header=BB0_25 Depth=1
	s_or_b32 s2, s1, 1
	s_mov_b32 s4, s14
	s_lshl_b32 s3, s2, 1
	s_delay_alu instid0(SALU_CYCLE_1) | instskip(NEXT) | instid1(SALU_CYCLE_1)
	s_lshl_b32 s3, 2, s3
	s_add_co_i32 s3, s3, -1
	s_delay_alu instid0(SALU_CYCLE_1)
	v_cvt_f64_u32_e32 v[0:1], s3
	s_mov_b32 s3, 16
.LBB0_28:                               ;   Parent Loop BB0_25 Depth=1
                                        ; =>  This Inner Loop Header: Depth=2
	scratch_load_b128 v[2:5], off, s4 offset:-8
	s_add_co_i32 s3, s3, -1
	s_add_co_i32 s5, s4, -8
	s_cmp_gt_u32 s3, s2
	s_wait_loadcnt 0x0
	v_add_f64_e64 v[2:3], v[4:5], -v[2:3]
	s_delay_alu instid0(VALU_DEP_1) | instskip(SKIP_1) | instid1(VALU_DEP_2)
	v_div_scale_f64 v[6:7], null, v[0:1], v[0:1], v[2:3]
	v_div_scale_f64 v[12:13], vcc_lo, v[2:3], v[0:1], v[2:3]
	v_rcp_f64_e32 v[8:9], v[6:7]
	v_nop
	s_delay_alu instid0(TRANS32_DEP_1) | instskip(NEXT) | instid1(VALU_DEP_1)
	v_fma_f64 v[10:11], -v[6:7], v[8:9], 1.0
	v_fmac_f64_e32 v[8:9], v[8:9], v[10:11]
	s_delay_alu instid0(VALU_DEP_1) | instskip(NEXT) | instid1(VALU_DEP_1)
	v_fma_f64 v[10:11], -v[6:7], v[8:9], 1.0
	v_fmac_f64_e32 v[8:9], v[8:9], v[10:11]
	s_delay_alu instid0(VALU_DEP_1) | instskip(NEXT) | instid1(VALU_DEP_1)
	v_mul_f64_e32 v[10:11], v[12:13], v[8:9]
	v_fma_f64 v[6:7], -v[6:7], v[10:11], v[12:13]
	s_delay_alu instid0(VALU_DEP_1) | instskip(NEXT) | instid1(VALU_DEP_1)
	v_div_fmas_f64 v[6:7], v[6:7], v[8:9], v[10:11]
	v_div_fixup_f64 v[2:3], v[6:7], v[0:1], v[2:3]
	s_delay_alu instid0(VALU_DEP_1)
	v_add_f64_e32 v[2:3], v[4:5], v[2:3]
	scratch_store_b64 off, v[2:3], s4
	s_wait_xcnt 0x0
	s_mov_b32 s4, s5
	s_cbranch_scc1 .LBB0_28
; %bb.29:                               ;   in Loop: Header=BB0_25 Depth=1
	s_add_co_i32 s1, s1, 2
	s_delay_alu instid0(SALU_CYCLE_1)
	s_cmp_eq_u32 s1, 16
	s_cbranch_scc0 .LBB0_25
; %bb.30:
	scratch_load_b64 v[0:1], off, off offset:128
	v_mov_b32_e32 v2, s12
	s_wait_loadcnt 0x0
	global_store_b64 v2, v[0:1], s[8:9] scale_offset
	s_sendmsg sendmsg(MSG_DEALLOC_VGPRS)
	s_endpgm
	.section	.rodata,"a",@progbits
	.p2align	6, 0x0
	.amdhsa_kernel _Z7rombergddPd
		.amdhsa_group_segment_fixed_size 0
		.amdhsa_private_segment_fixed_size 144
		.amdhsa_kernarg_size 280
		.amdhsa_user_sgpr_count 2
		.amdhsa_user_sgpr_dispatch_ptr 0
		.amdhsa_user_sgpr_queue_ptr 0
		.amdhsa_user_sgpr_kernarg_segment_ptr 1
		.amdhsa_user_sgpr_dispatch_id 0
		.amdhsa_user_sgpr_kernarg_preload_length 0
		.amdhsa_user_sgpr_kernarg_preload_offset 0
		.amdhsa_user_sgpr_private_segment_size 0
		.amdhsa_wavefront_size32 1
		.amdhsa_uses_dynamic_stack 0
		.amdhsa_enable_private_segment 1
		.amdhsa_system_sgpr_workgroup_id_x 1
		.amdhsa_system_sgpr_workgroup_id_y 0
		.amdhsa_system_sgpr_workgroup_id_z 0
		.amdhsa_system_sgpr_workgroup_info 0
		.amdhsa_system_vgpr_workitem_id 0
		.amdhsa_next_free_vgpr 68
		.amdhsa_next_free_sgpr 16
		.amdhsa_named_barrier_count 0
		.amdhsa_reserve_vcc 1
		.amdhsa_float_round_mode_32 0
		.amdhsa_float_round_mode_16_64 0
		.amdhsa_float_denorm_mode_32 3
		.amdhsa_float_denorm_mode_16_64 3
		.amdhsa_fp16_overflow 0
		.amdhsa_memory_ordered 1
		.amdhsa_forward_progress 1
		.amdhsa_inst_pref_size 50
		.amdhsa_round_robin_scheduling 0
		.amdhsa_exception_fp_ieee_invalid_op 0
		.amdhsa_exception_fp_denorm_src 0
		.amdhsa_exception_fp_ieee_div_zero 0
		.amdhsa_exception_fp_ieee_overflow 0
		.amdhsa_exception_fp_ieee_underflow 0
		.amdhsa_exception_fp_ieee_inexact 0
		.amdhsa_exception_int_div_zero 0
	.end_amdhsa_kernel
	.text
.Lfunc_end0:
	.size	_Z7rombergddPd, .Lfunc_end0-_Z7rombergddPd
                                        ; -- End function
	.set _Z7rombergddPd.num_vgpr, 68
	.set _Z7rombergddPd.num_agpr, 0
	.set _Z7rombergddPd.numbered_sgpr, 16
	.set _Z7rombergddPd.num_named_barrier, 0
	.set _Z7rombergddPd.private_seg_size, 144
	.set _Z7rombergddPd.uses_vcc, 1
	.set _Z7rombergddPd.uses_flat_scratch, 1
	.set _Z7rombergddPd.has_dyn_sized_stack, 0
	.set _Z7rombergddPd.has_recursion, 0
	.set _Z7rombergddPd.has_indirect_call, 0
	.section	.AMDGPU.csdata,"",@progbits
; Kernel info:
; codeLenInByte = 6276
; TotalNumSgprs: 18
; NumVgprs: 68
; ScratchSize: 144
; MemoryBound: 0
; FloatMode: 240
; IeeeMode: 1
; LDSByteSize: 0 bytes/workgroup (compile time only)
; SGPRBlocks: 0
; VGPRBlocks: 4
; NumSGPRsForWavesPerEU: 18
; NumVGPRsForWavesPerEU: 68
; NamedBarCnt: 0
; Occupancy: 12
; WaveLimiterHint : 0
; COMPUTE_PGM_RSRC2:SCRATCH_EN: 1
; COMPUTE_PGM_RSRC2:USER_SGPR: 2
; COMPUTE_PGM_RSRC2:TRAP_HANDLER: 0
; COMPUTE_PGM_RSRC2:TGID_X_EN: 1
; COMPUTE_PGM_RSRC2:TGID_Y_EN: 0
; COMPUTE_PGM_RSRC2:TGID_Z_EN: 0
; COMPUTE_PGM_RSRC2:TIDIG_COMP_CNT: 0
	.text
	.p2alignl 7, 3214868480
	.fill 96, 4, 3214868480
	.section	.AMDGPU.gpr_maximums,"",@progbits
	.set amdgpu.max_num_vgpr, 0
	.set amdgpu.max_num_agpr, 0
	.set amdgpu.max_num_sgpr, 0
	.text
	.type	__hip_cuid_ea9c6574c8aa1144,@object ; @__hip_cuid_ea9c6574c8aa1144
	.section	.bss,"aw",@nobits
	.globl	__hip_cuid_ea9c6574c8aa1144
__hip_cuid_ea9c6574c8aa1144:
	.byte	0                               ; 0x0
	.size	__hip_cuid_ea9c6574c8aa1144, 1

	.ident	"AMD clang version 22.0.0git (https://github.com/RadeonOpenCompute/llvm-project roc-7.2.4 26084 f58b06dce1f9c15707c5f808fd002e18c2accf7e)"
	.section	".note.GNU-stack","",@progbits
	.addrsig
	.addrsig_sym __hip_cuid_ea9c6574c8aa1144
	.amdgpu_metadata
---
amdhsa.kernels:
  - .args:
      - .offset:         0
        .size:           8
        .value_kind:     by_value
      - .offset:         8
        .size:           8
        .value_kind:     by_value
      - .address_space:  global
        .offset:         16
        .size:           8
        .value_kind:     global_buffer
      - .offset:         24
        .size:           4
        .value_kind:     hidden_block_count_x
      - .offset:         28
        .size:           4
        .value_kind:     hidden_block_count_y
      - .offset:         32
        .size:           4
        .value_kind:     hidden_block_count_z
      - .offset:         36
        .size:           2
        .value_kind:     hidden_group_size_x
      - .offset:         38
        .size:           2
        .value_kind:     hidden_group_size_y
      - .offset:         40
        .size:           2
        .value_kind:     hidden_group_size_z
      - .offset:         42
        .size:           2
        .value_kind:     hidden_remainder_x
      - .offset:         44
        .size:           2
        .value_kind:     hidden_remainder_y
      - .offset:         46
        .size:           2
        .value_kind:     hidden_remainder_z
      - .offset:         64
        .size:           8
        .value_kind:     hidden_global_offset_x
      - .offset:         72
        .size:           8
        .value_kind:     hidden_global_offset_y
      - .offset:         80
        .size:           8
        .value_kind:     hidden_global_offset_z
      - .offset:         88
        .size:           2
        .value_kind:     hidden_grid_dims
      - .offset:         144
        .size:           4
        .value_kind:     hidden_dynamic_lds_size
    .group_segment_fixed_size: 0
    .kernarg_segment_align: 8
    .kernarg_segment_size: 280
    .language:       OpenCL C
    .language_version:
      - 2
      - 0
    .max_flat_workgroup_size: 1024
    .name:           _Z7rombergddPd
    .private_segment_fixed_size: 144
    .sgpr_count:     18
    .sgpr_spill_count: 0
    .symbol:         _Z7rombergddPd.kd
    .uniform_work_group_size: 1
    .uses_dynamic_stack: false
    .vgpr_count:     68
    .vgpr_spill_count: 0
    .wavefront_size: 32
amdhsa.target:   amdgcn-amd-amdhsa--gfx1250
amdhsa.version:
  - 1
  - 2
...

	.end_amdgpu_metadata
